;; amdgpu-corpus repo=ROCm/rocFFT kind=compiled arch=gfx1201 opt=O3
	.text
	.amdgcn_target "amdgcn-amd-amdhsa--gfx1201"
	.amdhsa_code_object_version 6
	.protected	fft_rtc_back_len385_factors_11_7_5_wgs_55_tpt_55_dp_ip_CI_unitstride_sbrr_dirReg ; -- Begin function fft_rtc_back_len385_factors_11_7_5_wgs_55_tpt_55_dp_ip_CI_unitstride_sbrr_dirReg
	.globl	fft_rtc_back_len385_factors_11_7_5_wgs_55_tpt_55_dp_ip_CI_unitstride_sbrr_dirReg
	.p2align	8
	.type	fft_rtc_back_len385_factors_11_7_5_wgs_55_tpt_55_dp_ip_CI_unitstride_sbrr_dirReg,@function
fft_rtc_back_len385_factors_11_7_5_wgs_55_tpt_55_dp_ip_CI_unitstride_sbrr_dirReg: ; @fft_rtc_back_len385_factors_11_7_5_wgs_55_tpt_55_dp_ip_CI_unitstride_sbrr_dirReg
; %bb.0:
	s_clause 0x2
	s_load_b128 s[4:7], s[0:1], 0x0
	s_load_b64 s[8:9], s[0:1], 0x50
	s_load_b64 s[10:11], s[0:1], 0x18
	v_mul_u32_u24_e32 v1, 0x4a8, v0
	v_mov_b32_e32 v3, 0
	s_delay_alu instid0(VALU_DEP_2) | instskip(NEXT) | instid1(VALU_DEP_1)
	v_lshrrev_b32_e32 v1, 16, v1
	v_add_nc_u32_e32 v5, ttmp9, v1
	v_mov_b32_e32 v1, 0
	v_mov_b32_e32 v2, 0
	;; [unrolled: 1-line block ×3, first 2 shown]
	s_wait_kmcnt 0x0
	v_cmp_lt_u64_e64 s2, s[6:7], 2
	s_delay_alu instid0(VALU_DEP_1)
	s_and_b32 vcc_lo, exec_lo, s2
	s_cbranch_vccnz .LBB0_8
; %bb.1:
	s_load_b64 s[2:3], s[0:1], 0x10
	v_mov_b32_e32 v1, 0
	v_mov_b32_e32 v2, 0
	s_add_nc_u64 s[12:13], s[10:11], 8
	s_mov_b64 s[14:15], 1
	s_wait_kmcnt 0x0
	s_add_nc_u64 s[16:17], s[2:3], 8
	s_mov_b32 s3, 0
.LBB0_2:                                ; =>This Inner Loop Header: Depth=1
	s_load_b64 s[18:19], s[16:17], 0x0
                                        ; implicit-def: $vgpr7_vgpr8
	s_mov_b32 s2, exec_lo
	s_wait_kmcnt 0x0
	v_or_b32_e32 v4, s19, v6
	s_delay_alu instid0(VALU_DEP_1)
	v_cmpx_ne_u64_e32 0, v[3:4]
	s_wait_alu 0xfffe
	s_xor_b32 s20, exec_lo, s2
	s_cbranch_execz .LBB0_4
; %bb.3:                                ;   in Loop: Header=BB0_2 Depth=1
	s_cvt_f32_u32 s2, s18
	s_cvt_f32_u32 s21, s19
	s_sub_nc_u64 s[24:25], 0, s[18:19]
	s_wait_alu 0xfffe
	s_delay_alu instid0(SALU_CYCLE_1) | instskip(SKIP_1) | instid1(SALU_CYCLE_2)
	s_fmamk_f32 s2, s21, 0x4f800000, s2
	s_wait_alu 0xfffe
	v_s_rcp_f32 s2, s2
	s_delay_alu instid0(TRANS32_DEP_1) | instskip(SKIP_1) | instid1(SALU_CYCLE_2)
	s_mul_f32 s2, s2, 0x5f7ffffc
	s_wait_alu 0xfffe
	s_mul_f32 s21, s2, 0x2f800000
	s_wait_alu 0xfffe
	s_delay_alu instid0(SALU_CYCLE_2) | instskip(SKIP_1) | instid1(SALU_CYCLE_2)
	s_trunc_f32 s21, s21
	s_wait_alu 0xfffe
	s_fmamk_f32 s2, s21, 0xcf800000, s2
	s_cvt_u32_f32 s23, s21
	s_wait_alu 0xfffe
	s_delay_alu instid0(SALU_CYCLE_1) | instskip(SKIP_1) | instid1(SALU_CYCLE_2)
	s_cvt_u32_f32 s22, s2
	s_wait_alu 0xfffe
	s_mul_u64 s[26:27], s[24:25], s[22:23]
	s_wait_alu 0xfffe
	s_mul_hi_u32 s29, s22, s27
	s_mul_i32 s28, s22, s27
	s_mul_hi_u32 s2, s22, s26
	s_mul_i32 s30, s23, s26
	s_wait_alu 0xfffe
	s_add_nc_u64 s[28:29], s[2:3], s[28:29]
	s_mul_hi_u32 s21, s23, s26
	s_mul_hi_u32 s31, s23, s27
	s_add_co_u32 s2, s28, s30
	s_wait_alu 0xfffe
	s_add_co_ci_u32 s2, s29, s21
	s_mul_i32 s26, s23, s27
	s_add_co_ci_u32 s27, s31, 0
	s_wait_alu 0xfffe
	s_add_nc_u64 s[26:27], s[2:3], s[26:27]
	s_wait_alu 0xfffe
	v_add_co_u32 v4, s2, s22, s26
	s_delay_alu instid0(VALU_DEP_1) | instskip(SKIP_1) | instid1(VALU_DEP_1)
	s_cmp_lg_u32 s2, 0
	s_add_co_ci_u32 s23, s23, s27
	v_readfirstlane_b32 s22, v4
	s_wait_alu 0xfffe
	s_delay_alu instid0(VALU_DEP_1)
	s_mul_u64 s[24:25], s[24:25], s[22:23]
	s_wait_alu 0xfffe
	s_mul_hi_u32 s27, s22, s25
	s_mul_i32 s26, s22, s25
	s_mul_hi_u32 s2, s22, s24
	s_mul_i32 s28, s23, s24
	s_wait_alu 0xfffe
	s_add_nc_u64 s[26:27], s[2:3], s[26:27]
	s_mul_hi_u32 s21, s23, s24
	s_mul_hi_u32 s22, s23, s25
	s_wait_alu 0xfffe
	s_add_co_u32 s2, s26, s28
	s_add_co_ci_u32 s2, s27, s21
	s_mul_i32 s24, s23, s25
	s_add_co_ci_u32 s25, s22, 0
	s_wait_alu 0xfffe
	s_add_nc_u64 s[24:25], s[2:3], s[24:25]
	s_wait_alu 0xfffe
	v_add_co_u32 v4, s2, v4, s24
	s_delay_alu instid0(VALU_DEP_1) | instskip(SKIP_1) | instid1(VALU_DEP_1)
	s_cmp_lg_u32 s2, 0
	s_add_co_ci_u32 s2, s23, s25
	v_mul_hi_u32 v13, v5, v4
	s_wait_alu 0xfffe
	v_mad_co_u64_u32 v[7:8], null, v5, s2, 0
	v_mad_co_u64_u32 v[9:10], null, v6, v4, 0
	;; [unrolled: 1-line block ×3, first 2 shown]
	s_delay_alu instid0(VALU_DEP_3) | instskip(SKIP_1) | instid1(VALU_DEP_4)
	v_add_co_u32 v4, vcc_lo, v13, v7
	s_wait_alu 0xfffd
	v_add_co_ci_u32_e32 v7, vcc_lo, 0, v8, vcc_lo
	s_delay_alu instid0(VALU_DEP_2) | instskip(SKIP_1) | instid1(VALU_DEP_2)
	v_add_co_u32 v4, vcc_lo, v4, v9
	s_wait_alu 0xfffd
	v_add_co_ci_u32_e32 v4, vcc_lo, v7, v10, vcc_lo
	s_wait_alu 0xfffd
	v_add_co_ci_u32_e32 v7, vcc_lo, 0, v12, vcc_lo
	s_delay_alu instid0(VALU_DEP_2) | instskip(SKIP_1) | instid1(VALU_DEP_2)
	v_add_co_u32 v4, vcc_lo, v4, v11
	s_wait_alu 0xfffd
	v_add_co_ci_u32_e32 v9, vcc_lo, 0, v7, vcc_lo
	s_delay_alu instid0(VALU_DEP_2) | instskip(SKIP_1) | instid1(VALU_DEP_3)
	v_mul_lo_u32 v10, s19, v4
	v_mad_co_u64_u32 v[7:8], null, s18, v4, 0
	v_mul_lo_u32 v11, s18, v9
	s_delay_alu instid0(VALU_DEP_2) | instskip(NEXT) | instid1(VALU_DEP_2)
	v_sub_co_u32 v7, vcc_lo, v5, v7
	v_add3_u32 v8, v8, v11, v10
	s_delay_alu instid0(VALU_DEP_1) | instskip(SKIP_1) | instid1(VALU_DEP_1)
	v_sub_nc_u32_e32 v10, v6, v8
	s_wait_alu 0xfffd
	v_subrev_co_ci_u32_e64 v10, s2, s19, v10, vcc_lo
	v_add_co_u32 v11, s2, v4, 2
	s_wait_alu 0xf1ff
	v_add_co_ci_u32_e64 v12, s2, 0, v9, s2
	v_sub_co_u32 v13, s2, v7, s18
	v_sub_co_ci_u32_e32 v8, vcc_lo, v6, v8, vcc_lo
	s_wait_alu 0xf1ff
	v_subrev_co_ci_u32_e64 v10, s2, 0, v10, s2
	s_delay_alu instid0(VALU_DEP_3) | instskip(NEXT) | instid1(VALU_DEP_3)
	v_cmp_le_u32_e32 vcc_lo, s18, v13
	v_cmp_eq_u32_e64 s2, s19, v8
	s_wait_alu 0xfffd
	v_cndmask_b32_e64 v13, 0, -1, vcc_lo
	v_cmp_le_u32_e32 vcc_lo, s19, v10
	s_wait_alu 0xfffd
	v_cndmask_b32_e64 v14, 0, -1, vcc_lo
	v_cmp_le_u32_e32 vcc_lo, s18, v7
	;; [unrolled: 3-line block ×3, first 2 shown]
	s_wait_alu 0xfffd
	v_cndmask_b32_e64 v15, 0, -1, vcc_lo
	v_cmp_eq_u32_e32 vcc_lo, s19, v10
	s_wait_alu 0xf1ff
	s_delay_alu instid0(VALU_DEP_2)
	v_cndmask_b32_e64 v7, v15, v7, s2
	s_wait_alu 0xfffd
	v_cndmask_b32_e32 v10, v14, v13, vcc_lo
	v_add_co_u32 v13, vcc_lo, v4, 1
	s_wait_alu 0xfffd
	v_add_co_ci_u32_e32 v14, vcc_lo, 0, v9, vcc_lo
	s_delay_alu instid0(VALU_DEP_3) | instskip(SKIP_2) | instid1(VALU_DEP_3)
	v_cmp_ne_u32_e32 vcc_lo, 0, v10
	s_wait_alu 0xfffd
	v_cndmask_b32_e32 v10, v13, v11, vcc_lo
	v_cndmask_b32_e32 v8, v14, v12, vcc_lo
	v_cmp_ne_u32_e32 vcc_lo, 0, v7
	s_wait_alu 0xfffd
	s_delay_alu instid0(VALU_DEP_2)
	v_dual_cndmask_b32 v7, v4, v10 :: v_dual_cndmask_b32 v8, v9, v8
.LBB0_4:                                ;   in Loop: Header=BB0_2 Depth=1
	s_wait_alu 0xfffe
	s_and_not1_saveexec_b32 s2, s20
	s_cbranch_execz .LBB0_6
; %bb.5:                                ;   in Loop: Header=BB0_2 Depth=1
	v_cvt_f32_u32_e32 v4, s18
	s_sub_co_i32 s20, 0, s18
	s_delay_alu instid0(VALU_DEP_1) | instskip(NEXT) | instid1(TRANS32_DEP_1)
	v_rcp_iflag_f32_e32 v4, v4
	v_mul_f32_e32 v4, 0x4f7ffffe, v4
	s_delay_alu instid0(VALU_DEP_1) | instskip(SKIP_1) | instid1(VALU_DEP_1)
	v_cvt_u32_f32_e32 v4, v4
	s_wait_alu 0xfffe
	v_mul_lo_u32 v7, s20, v4
	s_delay_alu instid0(VALU_DEP_1) | instskip(NEXT) | instid1(VALU_DEP_1)
	v_mul_hi_u32 v7, v4, v7
	v_add_nc_u32_e32 v4, v4, v7
	s_delay_alu instid0(VALU_DEP_1) | instskip(NEXT) | instid1(VALU_DEP_1)
	v_mul_hi_u32 v4, v5, v4
	v_mul_lo_u32 v7, v4, s18
	v_add_nc_u32_e32 v8, 1, v4
	s_delay_alu instid0(VALU_DEP_2) | instskip(NEXT) | instid1(VALU_DEP_1)
	v_sub_nc_u32_e32 v7, v5, v7
	v_subrev_nc_u32_e32 v9, s18, v7
	v_cmp_le_u32_e32 vcc_lo, s18, v7
	s_wait_alu 0xfffd
	s_delay_alu instid0(VALU_DEP_2) | instskip(NEXT) | instid1(VALU_DEP_1)
	v_dual_cndmask_b32 v7, v7, v9 :: v_dual_cndmask_b32 v4, v4, v8
	v_cmp_le_u32_e32 vcc_lo, s18, v7
	s_delay_alu instid0(VALU_DEP_2) | instskip(SKIP_1) | instid1(VALU_DEP_1)
	v_add_nc_u32_e32 v8, 1, v4
	s_wait_alu 0xfffd
	v_dual_cndmask_b32 v7, v4, v8 :: v_dual_mov_b32 v8, v3
.LBB0_6:                                ;   in Loop: Header=BB0_2 Depth=1
	s_wait_alu 0xfffe
	s_or_b32 exec_lo, exec_lo, s2
	s_load_b64 s[20:21], s[12:13], 0x0
	s_delay_alu instid0(VALU_DEP_1)
	v_mul_lo_u32 v4, v8, s18
	v_mul_lo_u32 v11, v7, s19
	v_mad_co_u64_u32 v[9:10], null, v7, s18, 0
	s_add_nc_u64 s[14:15], s[14:15], 1
	s_add_nc_u64 s[12:13], s[12:13], 8
	s_wait_alu 0xfffe
	v_cmp_ge_u64_e64 s2, s[14:15], s[6:7]
	s_add_nc_u64 s[16:17], s[16:17], 8
	s_delay_alu instid0(VALU_DEP_2) | instskip(NEXT) | instid1(VALU_DEP_3)
	v_add3_u32 v4, v10, v11, v4
	v_sub_co_u32 v5, vcc_lo, v5, v9
	s_wait_alu 0xfffd
	s_delay_alu instid0(VALU_DEP_2) | instskip(SKIP_3) | instid1(VALU_DEP_2)
	v_sub_co_ci_u32_e32 v4, vcc_lo, v6, v4, vcc_lo
	s_and_b32 vcc_lo, exec_lo, s2
	s_wait_kmcnt 0x0
	v_mul_lo_u32 v6, s21, v5
	v_mul_lo_u32 v4, s20, v4
	v_mad_co_u64_u32 v[1:2], null, s20, v5, v[1:2]
	s_delay_alu instid0(VALU_DEP_1)
	v_add3_u32 v2, v6, v2, v4
	s_wait_alu 0xfffe
	s_cbranch_vccnz .LBB0_9
; %bb.7:                                ;   in Loop: Header=BB0_2 Depth=1
	v_dual_mov_b32 v5, v7 :: v_dual_mov_b32 v6, v8
	s_branch .LBB0_2
.LBB0_8:
	v_dual_mov_b32 v8, v6 :: v_dual_mov_b32 v7, v5
.LBB0_9:
	s_lshl_b64 s[2:3], s[6:7], 3
	v_mul_hi_u32 v3, 0x4a7904b, v0
	s_wait_alu 0xfffe
	s_add_nc_u64 s[2:3], s[10:11], s[2:3]
	s_load_b64 s[2:3], s[2:3], 0x0
	s_load_b64 s[0:1], s[0:1], 0x20
	s_delay_alu instid0(VALU_DEP_1) | instskip(NEXT) | instid1(VALU_DEP_1)
	v_mul_u32_u24_e32 v3, 55, v3
	v_sub_nc_u32_e32 v58, v0, v3
	s_delay_alu instid0(VALU_DEP_1)
	v_lshl_add_u32 v159, v58, 4, 0
	s_wait_kmcnt 0x0
	v_mul_lo_u32 v4, s2, v8
	v_mul_lo_u32 v5, s3, v7
	v_mad_co_u64_u32 v[1:2], null, s2, v7, v[1:2]
	v_cmp_gt_u64_e32 vcc_lo, s[0:1], v[7:8]
	s_delay_alu instid0(VALU_DEP_2) | instskip(NEXT) | instid1(VALU_DEP_1)
	v_add3_u32 v2, v5, v2, v4
	v_lshlrev_b64_e32 v[56:57], 4, v[1:2]
	s_and_saveexec_b32 s1, vcc_lo
	s_cbranch_execz .LBB0_11
; %bb.10:
	v_mov_b32_e32 v59, 0
	s_delay_alu instid0(VALU_DEP_2) | instskip(SKIP_2) | instid1(VALU_DEP_3)
	v_add_co_u32 v2, s0, s8, v56
	s_wait_alu 0xf1ff
	v_add_co_ci_u32_e64 v3, s0, s9, v57, s0
	v_lshlrev_b64_e32 v[0:1], 4, v[58:59]
	s_delay_alu instid0(VALU_DEP_1) | instskip(SKIP_1) | instid1(VALU_DEP_2)
	v_add_co_u32 v24, s0, v2, v0
	s_wait_alu 0xf1ff
	v_add_co_ci_u32_e64 v25, s0, v3, v1, s0
	s_clause 0x6
	global_load_b128 v[0:3], v[24:25], off
	global_load_b128 v[4:7], v[24:25], off offset:880
	global_load_b128 v[8:11], v[24:25], off offset:1760
	;; [unrolled: 1-line block ×6, first 2 shown]
	s_wait_loadcnt 0x6
	ds_store_b128 v159, v[0:3]
	s_wait_loadcnt 0x5
	ds_store_b128 v159, v[4:7] offset:880
	s_wait_loadcnt 0x4
	ds_store_b128 v159, v[8:11] offset:1760
	;; [unrolled: 2-line block ×6, first 2 shown]
.LBB0_11:
	s_wait_alu 0xfffe
	s_or_b32 exec_lo, exec_lo, s1
	global_wb scope:SCOPE_SE
	s_wait_dscnt 0x0
	s_barrier_signal -1
	s_barrier_wait -1
	global_inv scope:SCOPE_SE
	ds_load_b128 v[12:15], v159 offset:5600
	ds_load_b128 v[24:27], v159 offset:560
	ds_load_b128 v[28:31], v159
	ds_load_b128 v[16:19], v159 offset:5040
	ds_load_b128 v[32:35], v159 offset:1120
	s_mov_b32 s12, 0x8eee2c13
	s_mov_b32 s2, 0xd9c712b6
	;; [unrolled: 1-line block ×4, first 2 shown]
	ds_load_b128 v[36:39], v159 offset:1680
	ds_load_b128 v[20:23], v159 offset:4480
	s_mov_b32 s10, 0xbb3a28a1
	s_mov_b32 s6, 0x7f775887
	;; [unrolled: 1-line block ×8, first 2 shown]
	ds_load_b128 v[40:43], v159 offset:3920
	ds_load_b128 v[52:55], v159 offset:2240
	s_mov_b32 s22, 0xfd768dbf
	s_mov_b32 s18, 0x9bcd5057
	;; [unrolled: 1-line block ×3, first 2 shown]
	s_wait_dscnt 0x7
	v_add_f64_e64 v[67:68], v[26:27], -v[14:15]
	v_add_f64_e32 v[63:64], v[26:27], v[14:15]
	v_add_f64_e32 v[65:66], v[24:25], v[12:13]
	s_wait_dscnt 0x4
	v_add_f64_e64 v[61:62], v[34:35], -v[18:19]
	v_add_f64_e64 v[73:74], v[24:25], -v[12:13]
	v_add_f64_e32 v[59:60], v[34:35], v[18:19]
	v_add_f64_e32 v[81:82], v[32:33], v[16:17]
	s_wait_dscnt 0x2
	v_add_f64_e64 v[87:88], v[38:39], -v[22:23]
	v_add_f64_e64 v[89:90], v[32:33], -v[16:17]
	v_add_f64_e32 v[75:76], v[38:39], v[22:23]
	s_mov_b32 s19, 0xbfeeb42a
	v_add_f64_e32 v[101:102], v[36:37], v[20:21]
	v_add_f64_e64 v[115:116], v[36:37], -v[20:21]
	ds_load_b128 v[48:51], v159 offset:2800
	ds_load_b128 v[44:47], v159 offset:3360
	s_mov_b32 s25, 0x3fefac9e
	s_mov_b32 s21, 0x3fed1bb4
	s_wait_dscnt 0x2
	v_add_f64_e64 v[93:94], v[54:55], -v[42:43]
	v_add_f64_e32 v[77:78], v[54:55], v[42:43]
	s_mov_b32 s24, s16
	s_mov_b32 s20, s12
	v_add_f64_e32 v[91:92], v[52:53], v[40:41]
	v_add_f64_e64 v[113:114], v[52:53], -v[40:41]
	s_mov_b32 s26, 0x8764f0ba
	s_mov_b32 s30, 0xf8bb580b
	;; [unrolled: 1-line block ×7, first 2 shown]
	s_wait_alu 0xfffe
	s_mov_b32 s34, s22
	s_mov_b32 s1, exec_lo
	global_wb scope:SCOPE_SE
	s_wait_dscnt 0x0
	s_barrier_signal -1
	v_add_f64_e64 v[99:100], v[50:51], -v[46:47]
	v_add_f64_e32 v[79:80], v[50:51], v[46:47]
	v_add_f64_e32 v[105:106], v[48:49], v[44:45]
	v_add_f64_e64 v[129:130], v[48:49], -v[44:45]
	s_barrier_wait -1
	v_mul_f64_e32 v[69:70], s[12:13], v[67:68]
	v_mul_f64_e32 v[71:72], s[2:3], v[63:64]
	;; [unrolled: 1-line block ×22, first 2 shown]
	global_inv scope:SCOPE_SE
	v_mul_f64_e32 v[107:108], s[28:29], v[99:100]
	v_mul_f64_e32 v[111:112], s[26:27], v[79:80]
	v_fma_f64 v[0:1], v[65:66], s[2:3], -v[69:70]
	v_fma_f64 v[2:3], v[73:74], s[12:13], v[71:72]
	v_fma_f64 v[8:9], v[65:66], s[14:15], -v[133:134]
	v_fma_f64 v[4:5], v[81:82], s[6:7], -v[83:84]
	v_fma_f64 v[10:11], v[73:74], s[16:17], v[135:136]
	v_fma_f64 v[6:7], v[89:90], s[10:11], v[85:86]
	v_fma_f64 v[119:120], v[101:102], s[18:19], -v[103:104]
	v_fma_f64 v[121:122], v[115:116], s[22:23], v[109:110]
	v_fma_f64 v[143:144], v[101:102], s[2:3], -v[131:132]
	v_fma_f64 v[145:146], v[73:74], s[10:11], v[155:156]
	v_fma_f64 v[164:165], v[89:90], s[24:25], v[149:150]
	v_fma_f64 v[139:140], v[91:92], s[14:15], -v[95:96]
	v_fma_f64 v[141:142], v[113:114], s[24:25], v[97:98]
	v_fma_f64 v[160:161], v[105:106], s[26:27], -v[107:108]
	v_fma_f64 v[162:163], v[129:130], s[28:29], v[111:112]
	v_add_f64_e32 v[0:1], v[28:29], v[0:1]
	v_add_f64_e32 v[2:3], v[30:31], v[2:3]
	;; [unrolled: 1-line block ×4, first 2 shown]
	v_mul_f64_e32 v[145:146], s[18:19], v[77:78]
	v_add_f64_e32 v[0:1], v[4:5], v[0:1]
	v_add_f64_e32 v[2:3], v[6:7], v[2:3]
	v_fma_f64 v[4:5], v[81:82], s[18:19], -v[117:118]
	v_add_f64_e32 v[6:7], v[28:29], v[8:9]
	v_fma_f64 v[8:9], v[89:90], s[22:23], v[123:124]
	v_add_f64_e32 v[0:1], v[119:120], v[0:1]
	v_add_f64_e32 v[2:3], v[121:122], v[2:3]
	v_mul_f64_e32 v[119:120], s[10:11], v[99:100]
	v_add_f64_e32 v[4:5], v[4:5], v[6:7]
	v_fma_f64 v[6:7], v[115:116], s[20:21], v[137:138]
	v_add_f64_e32 v[8:9], v[8:9], v[10:11]
	v_fma_f64 v[10:11], v[65:66], s[6:7], -v[153:154]
	v_mul_f64_e32 v[121:122], s[6:7], v[79:80]
	v_add_f64_e32 v[0:1], v[139:140], v[0:1]
	v_add_f64_e32 v[2:3], v[141:142], v[2:3]
	v_fma_f64 v[139:140], v[91:92], s[26:27], -v[125:126]
	v_add_f64_e32 v[4:5], v[143:144], v[4:5]
	v_fma_f64 v[141:142], v[113:114], s[30:31], v[127:128]
	v_add_f64_e32 v[6:7], v[6:7], v[8:9]
	v_fma_f64 v[8:9], v[81:82], s[14:15], -v[147:148]
	v_add_f64_e32 v[10:11], v[28:29], v[10:11]
	v_mul_f64_e32 v[143:144], s[34:35], v[93:94]
	v_add_f64_e32 v[0:1], v[160:161], v[0:1]
	v_add_f64_e32 v[2:3], v[162:163], v[2:3]
	v_fma_f64 v[160:161], v[105:106], s[6:7], -v[119:120]
	v_add_f64_e32 v[4:5], v[139:140], v[4:5]
	v_fma_f64 v[139:140], v[129:130], s[10:11], v[121:122]
	v_add_f64_e32 v[6:7], v[141:142], v[6:7]
	v_add_f64_e32 v[141:142], v[164:165], v[166:167]
	v_add_f64_e32 v[8:9], v[8:9], v[10:11]
	v_fma_f64 v[10:11], v[101:102], s[26:27], -v[151:152]
	v_fma_f64 v[162:163], v[115:116], s[30:31], v[157:158]
	v_add_f64_e32 v[4:5], v[160:161], v[4:5]
	v_fma_f64 v[160:161], v[91:92], s[18:19], -v[143:144]
	v_add_f64_e32 v[6:7], v[139:140], v[6:7]
	v_mul_f64_e32 v[139:140], s[20:21], v[99:100]
	v_add_f64_e32 v[8:9], v[10:11], v[8:9]
	v_fma_f64 v[10:11], v[113:114], s[34:35], v[145:146]
	v_add_f64_e32 v[162:163], v[162:163], v[141:142]
	v_mul_f64_e32 v[141:142], s[2:3], v[79:80]
	s_delay_alu instid0(VALU_DEP_4) | instskip(SKIP_1) | instid1(VALU_DEP_4)
	v_add_f64_e32 v[8:9], v[160:161], v[8:9]
	v_fma_f64 v[160:161], v[105:106], s[2:3], -v[139:140]
	v_add_f64_e32 v[10:11], v[10:11], v[162:163]
	s_delay_alu instid0(VALU_DEP_4) | instskip(NEXT) | instid1(VALU_DEP_3)
	v_fma_f64 v[162:163], v[129:130], s[20:21], v[141:142]
	v_add_f64_e32 v[8:9], v[160:161], v[8:9]
	s_delay_alu instid0(VALU_DEP_2)
	v_add_f64_e32 v[10:11], v[162:163], v[10:11]
	v_cmpx_gt_u32_e32 35, v58
	s_cbranch_execz .LBB0_13
; %bb.12:
	v_add_f64_e32 v[26:27], v[30:31], v[26:27]
	v_add_f64_e32 v[24:25], v[28:29], v[24:25]
	v_mul_f64_e32 v[160:161], s[14:15], v[65:66]
	v_mul_f64_e32 v[162:163], s[16:17], v[73:74]
	s_delay_alu instid0(VALU_DEP_4) | instskip(NEXT) | instid1(VALU_DEP_4)
	v_add_f64_e32 v[26:27], v[26:27], v[34:35]
	v_add_f64_e32 v[24:25], v[24:25], v[32:33]
	v_mul_f64_e32 v[32:33], s[10:11], v[73:74]
	v_mul_f64_e32 v[34:35], s[34:35], v[73:74]
	v_add_f64_e64 v[135:136], v[135:136], -v[162:163]
	v_add_f64_e32 v[133:134], v[160:161], v[133:134]
	v_mul_f64_e32 v[162:163], s[26:27], v[101:102]
	v_mul_f64_e32 v[160:161], s[20:21], v[115:116]
	v_add_f64_e32 v[26:27], v[26:27], v[38:39]
	v_add_f64_e32 v[24:25], v[24:25], v[36:37]
	v_mul_f64_e32 v[36:37], s[6:7], v[65:66]
	v_mul_f64_e32 v[38:39], s[34:35], v[67:68]
	;; [unrolled: 1-line block ×3, first 2 shown]
	v_add_f64_e64 v[32:33], v[155:156], -v[32:33]
	v_fma_f64 v[155:156], v[63:64], s[18:19], v[34:35]
	v_fma_f64 v[34:35], v[63:64], s[18:19], -v[34:35]
	v_add_f64_e32 v[135:136], v[30:31], v[135:136]
	v_add_f64_e32 v[133:134], v[28:29], v[133:134]
	;; [unrolled: 1-line block ×3, first 2 shown]
	v_mul_f64_e32 v[162:163], s[10:11], v[115:116]
	v_add_f64_e64 v[137:138], v[137:138], -v[160:161]
	v_mul_f64_e32 v[160:161], s[10:11], v[87:88]
	v_mul_f64_e32 v[87:88], s[16:17], v[87:88]
	v_add_f64_e32 v[26:27], v[26:27], v[54:55]
	v_add_f64_e32 v[24:25], v[24:25], v[52:53]
	v_mul_f64_e32 v[52:53], s[12:13], v[73:74]
	v_mul_f64_e32 v[54:55], s[2:3], v[65:66]
	;; [unrolled: 1-line block ×3, first 2 shown]
	v_add_f64_e32 v[36:37], v[36:37], v[153:154]
	v_fma_f64 v[153:154], v[65:66], s[18:19], -v[38:39]
	v_fma_f64 v[38:39], v[65:66], s[18:19], v[38:39]
	v_add_f64_e32 v[155:156], v[30:31], v[155:156]
	v_add_f64_e32 v[34:35], v[30:31], v[34:35]
	;; [unrolled: 1-line block ×5, first 2 shown]
	v_add_f64_e64 v[52:53], v[71:72], -v[52:53]
	v_add_f64_e32 v[54:55], v[54:55], v[69:70]
	v_fma_f64 v[69:70], v[63:64], s[26:27], v[73:74]
	v_fma_f64 v[71:72], v[65:66], s[26:27], -v[67:68]
	v_fma_f64 v[63:64], v[63:64], s[26:27], -v[73:74]
	v_fma_f64 v[65:66], v[65:66], s[26:27], v[67:68]
	v_mul_f64_e32 v[67:68], s[30:31], v[115:116]
	v_mul_f64_e32 v[73:74], s[24:25], v[89:90]
	;; [unrolled: 1-line block ×4, first 2 shown]
	v_add_f64_e32 v[153:154], v[28:29], v[153:154]
	v_add_f64_e32 v[38:39], v[28:29], v[38:39]
	;; [unrolled: 1-line block ×11, first 2 shown]
	v_mul_f64_e32 v[63:64], s[2:3], v[101:102]
	v_mul_f64_e32 v[65:66], s[28:29], v[89:90]
	v_add_f64_e64 v[67:68], v[157:158], -v[67:68]
	v_mul_f64_e32 v[157:158], s[6:7], v[81:82]
	v_add_f64_e64 v[73:74], v[149:150], -v[73:74]
	v_mul_f64_e32 v[149:150], s[10:11], v[89:90]
	v_mul_f64_e32 v[44:45], s[18:19], v[81:82]
	;; [unrolled: 1-line block ×3, first 2 shown]
	v_add_f64_e32 v[50:51], v[50:51], v[147:148]
	v_mul_f64_e32 v[147:148], s[22:23], v[115:116]
	v_mul_f64_e32 v[89:90], s[12:13], v[89:90]
	;; [unrolled: 1-line block ×3, first 2 shown]
	v_add_f64_e64 v[48:49], v[123:124], -v[48:49]
	v_mul_f64_e32 v[123:124], s[18:19], v[101:102]
	v_mul_f64_e32 v[115:116], s[16:17], v[115:116]
	v_add_f64_e32 v[26:27], v[26:27], v[42:43]
	v_add_f64_e32 v[24:25], v[24:25], v[40:41]
	v_mul_f64_e32 v[42:43], s[6:7], v[105:106]
	v_add_f64_e32 v[63:64], v[63:64], v[131:132]
	v_fma_f64 v[131:132], v[59:60], s[26:27], v[65:66]
	v_fma_f64 v[65:66], v[59:60], s[26:27], -v[65:66]
	v_add_f64_e32 v[83:84], v[157:158], v[83:84]
	v_fma_f64 v[157:158], v[75:76], s[6:7], v[162:163]
	v_add_f64_e64 v[85:86], v[85:86], -v[149:150]
	v_add_f64_e32 v[44:45], v[44:45], v[117:118]
	v_fma_f64 v[117:118], v[81:82], s[26:27], -v[46:47]
	v_fma_f64 v[46:47], v[81:82], s[26:27], v[46:47]
	v_add_f64_e64 v[109:110], v[109:110], -v[147:148]
	v_fma_f64 v[147:148], v[59:60], s[2:3], v[89:90]
	v_fma_f64 v[59:60], v[59:60], s[2:3], -v[89:90]
	v_fma_f64 v[89:90], v[81:82], s[2:3], -v[61:62]
	v_fma_f64 v[61:62], v[81:82], s[2:3], v[61:62]
	v_mul_f64_e32 v[149:150], s[24:25], v[113:114]
	v_fma_f64 v[162:163], v[75:76], s[6:7], -v[162:163]
	v_add_f64_e32 v[103:104], v[123:124], v[103:104]
	v_add_f64_e32 v[32:33], v[73:74], v[32:33]
	;; [unrolled: 1-line block ×3, first 2 shown]
	v_mul_f64_e32 v[135:136], s[14:15], v[91:92]
	v_fma_f64 v[81:82], v[101:102], s[6:7], -v[160:161]
	v_fma_f64 v[160:161], v[101:102], s[6:7], v[160:161]
	v_fma_f64 v[123:124], v[75:76], s[14:15], v[115:116]
	v_fma_f64 v[75:76], v[75:76], s[14:15], -v[115:116]
	v_fma_f64 v[115:116], v[101:102], s[14:15], -v[87:88]
	v_fma_f64 v[87:88], v[101:102], s[14:15], v[87:88]
	v_mul_f64_e32 v[101:102], s[30:31], v[113:114]
	v_mul_f64_e32 v[73:74], s[26:27], v[91:92]
	v_add_f64_e32 v[36:37], v[50:51], v[36:37]
	v_add_f64_e32 v[22:23], v[26:27], v[22:23]
	;; [unrolled: 1-line block ×5, first 2 shown]
	v_mul_f64_e32 v[155:156], s[20:21], v[113:114]
	v_add_f64_e32 v[34:35], v[65:66], v[34:35]
	v_mul_f64_e32 v[65:66], s[34:35], v[113:114]
	v_add_f64_e32 v[52:53], v[85:86], v[52:53]
	v_add_f64_e32 v[54:55], v[83:84], v[54:55]
	;; [unrolled: 1-line block ×3, first 2 shown]
	v_mul_f64_e32 v[153:154], s[20:21], v[93:94]
	v_mul_f64_e32 v[93:94], s[10:11], v[93:94]
	v_add_f64_e32 v[44:45], v[44:45], v[133:134]
	v_add_f64_e32 v[38:39], v[46:47], v[38:39]
	v_mul_f64_e32 v[46:47], s[18:19], v[91:92]
	v_mul_f64_e32 v[113:114], s[10:11], v[113:114]
	v_add_f64_e32 v[50:51], v[147:148], v[69:70]
	v_add_f64_e32 v[30:31], v[59:60], v[30:31]
	v_add_f64_e32 v[28:29], v[61:62], v[28:29]
	v_add_f64_e32 v[40:41], v[89:90], v[71:72]
	v_mul_f64_e32 v[85:86], s[26:27], v[105:106]
	v_mul_f64_e32 v[83:84], s[28:29], v[129:130]
	;; [unrolled: 1-line block ×4, first 2 shown]
	v_add_f64_e64 v[97:98], v[97:98], -v[149:150]
	v_add_f64_e32 v[95:96], v[135:136], v[95:96]
	v_add_f64_e32 v[32:33], v[67:68], v[32:33]
	v_mul_f64_e32 v[59:60], s[10:11], v[129:130]
	v_mul_f64_e32 v[89:90], s[16:17], v[99:100]
	v_add_f64_e64 v[101:102], v[127:128], -v[101:102]
	v_add_f64_e32 v[73:74], v[73:74], v[125:126]
	v_add_f64_e32 v[48:49], v[137:138], v[48:49]
	v_mul_f64_e32 v[61:62], s[2:3], v[105:106]
	v_add_f64_e32 v[36:37], v[151:152], v[36:37]
	v_mul_f64_e32 v[129:130], s[34:35], v[129:130]
	v_mul_f64_e32 v[99:100], s[34:35], v[99:100]
	v_fma_f64 v[133:134], v[77:78], s[2:3], v[155:156]
	v_fma_f64 v[155:156], v[77:78], s[2:3], -v[155:156]
	v_add_f64_e64 v[65:66], v[145:146], -v[65:66]
	v_add_f64_e32 v[34:35], v[162:163], v[34:35]
	v_add_f64_e32 v[52:53], v[109:110], v[52:53]
	;; [unrolled: 1-line block ×3, first 2 shown]
	v_fma_f64 v[147:148], v[91:92], s[2:3], -v[153:154]
	v_fma_f64 v[153:154], v[91:92], s[2:3], v[153:154]
	v_fma_f64 v[127:128], v[91:92], s[6:7], -v[93:94]
	v_fma_f64 v[91:92], v[91:92], s[6:7], v[93:94]
	v_add_f64_e32 v[93:94], v[157:158], v[131:132]
	v_add_f64_e32 v[44:45], v[63:64], v[44:45]
	;; [unrolled: 1-line block ×5, first 2 shown]
	v_fma_f64 v[125:126], v[77:78], s[6:7], v[113:114]
	v_fma_f64 v[77:78], v[77:78], s[6:7], -v[113:114]
	v_add_f64_e32 v[50:51], v[123:124], v[50:51]
	v_add_f64_e32 v[30:31], v[75:76], v[30:31]
	;; [unrolled: 1-line block ×4, first 2 shown]
	v_fma_f64 v[28:29], v[79:80], s[14:15], v[71:72]
	v_fma_f64 v[63:64], v[79:80], s[14:15], -v[71:72]
	v_add_f64_e64 v[69:70], v[141:142], -v[69:70]
	v_add_f64_e64 v[71:72], v[111:112], -v[83:84]
	v_add_f64_e32 v[75:76], v[85:86], v[107:108]
	v_fma_f64 v[40:41], v[105:106], s[14:15], -v[89:90]
	v_fma_f64 v[67:68], v[105:106], s[14:15], v[89:90]
	v_add_f64_e64 v[59:60], v[121:122], -v[59:60]
	v_add_f64_e32 v[48:49], v[101:102], v[48:49]
	v_add_f64_e32 v[61:62], v[61:62], v[139:140]
	v_fma_f64 v[83:84], v[79:80], s[18:19], v[129:130]
	v_fma_f64 v[79:80], v[79:80], s[18:19], -v[129:130]
	v_fma_f64 v[87:88], v[105:106], s[18:19], v[99:100]
	v_fma_f64 v[85:86], v[105:106], s[18:19], -v[99:100]
	v_add_f64_e32 v[32:33], v[65:66], v[32:33]
	v_add_f64_e32 v[34:35], v[155:156], v[34:35]
	;; [unrolled: 1-line block ×27, first 2 shown]
	v_mad_u32_u24 v44, 0xa0, v58, v159
	v_add_f64_e32 v[38:39], v[83:84], v[46:47]
	v_add_f64_e32 v[42:43], v[79:80], v[50:51]
	;; [unrolled: 1-line block ×4, first 2 shown]
	ds_store_b128 v44, v[4:7] offset:128
	ds_store_b128 v44, v[0:3] offset:144
	;; [unrolled: 1-line block ×8, first 2 shown]
	ds_store_b128 v44, v[12:15]
	ds_store_b128 v44, v[40:43] offset:16
	ds_store_b128 v44, v[36:39] offset:160
.LBB0_13:
	s_wait_alu 0xfffe
	s_or_b32 exec_lo, exec_lo, s1
	v_and_b32_e32 v12, 0xff, v58
	global_wb scope:SCOPE_SE
	s_wait_dscnt 0x0
	s_barrier_signal -1
	s_barrier_wait -1
	global_inv scope:SCOPE_SE
	v_mul_lo_u16 v12, 0x75, v12
	s_mov_b32 s0, 0x37e14327
	s_mov_b32 s1, 0x3fe948f6
	;; [unrolled: 1-line block ×4, first 2 shown]
	v_lshrrev_b16 v12, 8, v12
	s_mov_b32 s3, 0x3fac98ee
	s_mov_b32 s7, 0x3fe11646
	;; [unrolled: 1-line block ×4, first 2 shown]
	v_sub_nc_u16 v13, v58, v12
	s_mov_b32 s13, 0xbfd5d0dc
	s_mov_b32 s12, 0xb247c609
	s_delay_alu instid0(VALU_DEP_1) | instskip(NEXT) | instid1(VALU_DEP_1)
	v_lshrrev_b16 v13, 1, v13
	v_and_b32_e32 v13, 0x7f, v13
	s_delay_alu instid0(VALU_DEP_1) | instskip(NEXT) | instid1(VALU_DEP_1)
	v_add_nc_u16 v12, v13, v12
	v_lshrrev_b16 v75, 3, v12
	s_delay_alu instid0(VALU_DEP_1) | instskip(NEXT) | instid1(VALU_DEP_1)
	v_mul_lo_u16 v12, v75, 11
	v_sub_nc_u16 v12, v58, v12
	s_delay_alu instid0(VALU_DEP_1) | instskip(NEXT) | instid1(VALU_DEP_1)
	v_and_b32_e32 v76, 0xff, v12
	v_mul_u32_u24_e32 v12, 6, v76
	s_delay_alu instid0(VALU_DEP_1)
	v_lshlrev_b32_e32 v32, 4, v12
	s_clause 0x5
	global_load_b128 v[12:15], v32, s[4:5]
	global_load_b128 v[16:19], v32, s[4:5] offset:16
	global_load_b128 v[20:23], v32, s[4:5] offset:80
	;; [unrolled: 1-line block ×5, first 2 shown]
	ds_load_b128 v[36:39], v159 offset:880
	ds_load_b128 v[40:43], v159 offset:1760
	;; [unrolled: 1-line block ×6, first 2 shown]
	s_wait_loadcnt_dscnt 0x505
	v_mul_f64_e32 v[63:64], v[38:39], v[14:15]
	v_mul_f64_e32 v[14:15], v[36:37], v[14:15]
	s_wait_loadcnt_dscnt 0x404
	v_mul_f64_e32 v[65:66], v[42:43], v[18:19]
	v_mul_f64_e32 v[18:19], v[40:41], v[18:19]
	s_wait_loadcnt_dscnt 0x303
	v_mul_f64_e32 v[67:68], v[46:47], v[22:23]
	v_mul_f64_e32 v[22:23], v[44:45], v[22:23]
	s_wait_loadcnt_dscnt 0x202
	v_mul_f64_e32 v[69:70], v[50:51], v[26:27]
	v_mul_f64_e32 v[26:27], v[48:49], v[26:27]
	s_wait_loadcnt_dscnt 0x101
	v_mul_f64_e32 v[71:72], v[54:55], v[30:31]
	v_mul_f64_e32 v[30:31], v[52:53], v[30:31]
	s_wait_loadcnt_dscnt 0x0
	v_mul_f64_e32 v[73:74], v[61:62], v[34:35]
	v_mul_f64_e32 v[34:35], v[59:60], v[34:35]
	v_fma_f64 v[36:37], v[36:37], v[12:13], v[63:64]
	v_fma_f64 v[12:13], v[38:39], v[12:13], -v[14:15]
	v_fma_f64 v[14:15], v[40:41], v[16:17], v[65:66]
	v_fma_f64 v[16:17], v[42:43], v[16:17], -v[18:19]
	;; [unrolled: 2-line block ×6, first 2 shown]
	v_add_f64_e32 v[34:35], v[36:37], v[18:19]
	v_add_f64_e32 v[38:39], v[12:13], v[20:21]
	;; [unrolled: 1-line block ×4, first 2 shown]
	v_add_f64_e64 v[22:23], v[14:15], -v[22:23]
	v_add_f64_e64 v[16:17], v[16:17], -v[24:25]
	v_add_f64_e32 v[44:45], v[26:27], v[30:31]
	v_add_f64_e32 v[46:47], v[28:29], v[32:33]
	v_add_f64_e64 v[24:25], v[30:31], -v[26:27]
	v_add_f64_e64 v[26:27], v[32:33], -v[28:29]
	;; [unrolled: 1-line block ×4, first 2 shown]
	v_add_f64_e32 v[12:13], v[40:41], v[34:35]
	v_add_f64_e32 v[14:15], v[42:43], v[38:39]
	v_add_f64_e64 v[20:21], v[34:35], -v[44:45]
	v_add_f64_e64 v[30:31], v[38:39], -v[46:47]
	;; [unrolled: 1-line block ×10, first 2 shown]
	v_add_f64_e32 v[40:41], v[24:25], v[22:23]
	v_add_f64_e32 v[16:17], v[26:27], v[16:17]
	v_add_f64_e64 v[24:25], v[18:19], -v[24:25]
	v_add_f64_e64 v[26:27], v[28:29], -v[26:27]
	v_add_f64_e32 v[44:45], v[44:45], v[12:13]
	v_add_f64_e32 v[46:47], v[46:47], v[14:15]
	ds_load_b128 v[12:15], v159
	global_wb scope:SCOPE_SE
	s_wait_dscnt 0x0
	s_wait_alu 0xfffe
	v_mul_f64_e32 v[42:43], s[0:1], v[20:21]
	v_mul_f64_e32 v[30:31], s[0:1], v[30:31]
	s_mov_b32 s0, 0x429ad128
	v_mul_f64_e32 v[59:60], s[2:3], v[32:33]
	v_mul_f64_e32 v[61:62], s[2:3], v[36:37]
	;; [unrolled: 1-line block ×4, first 2 shown]
	s_mov_b32 s1, 0xbfebfeb5
	s_mov_b32 s6, 0xaaaaaaaa
	s_wait_alu 0xfffe
	v_mul_f64_e32 v[63:64], s[0:1], v[52:53]
	v_mul_f64_e32 v[65:66], s[0:1], v[54:55]
	s_mov_b32 s7, 0xbff2aaaa
	s_barrier_signal -1
	s_barrier_wait -1
	global_inv scope:SCOPE_SE
	v_add_f64_e32 v[20:21], v[12:13], v[44:45]
	v_add_f64_e32 v[22:23], v[14:15], v[46:47]
	;; [unrolled: 1-line block ×4, first 2 shown]
	v_fma_f64 v[16:17], v[32:33], s[2:3], v[42:43]
	v_fma_f64 v[18:19], v[36:37], s[2:3], v[30:31]
	v_fma_f64 v[28:29], v[34:35], s[10:11], -v[59:60]
	v_fma_f64 v[32:33], v[38:39], s[10:11], -v[61:62]
	s_mov_b32 s11, 0xbfe77f67
	v_fma_f64 v[36:37], v[24:25], s[12:13], v[48:49]
	v_fma_f64 v[40:41], v[26:27], s[12:13], v[50:51]
	s_mov_b32 s13, 0x3fd5d0dc
	v_fma_f64 v[48:49], v[52:53], s[0:1], -v[48:49]
	v_fma_f64 v[50:51], v[54:55], s[0:1], -v[50:51]
	s_wait_alu 0xfffe
	v_fma_f64 v[24:25], v[24:25], s[12:13], -v[63:64]
	v_fma_f64 v[26:27], v[26:27], s[12:13], -v[65:66]
	;; [unrolled: 1-line block ×4, first 2 shown]
	s_mov_b32 s0, 0x37c3f68c
	s_mov_b32 s1, 0xbfdc38aa
	v_fma_f64 v[44:45], v[44:45], s[6:7], v[20:21]
	v_fma_f64 v[46:47], v[46:47], s[6:7], v[22:23]
	s_wait_alu 0xfffe
	v_fma_f64 v[42:43], v[12:13], s[0:1], v[36:37]
	v_fma_f64 v[40:41], v[14:15], s[0:1], v[40:41]
	;; [unrolled: 1-line block ×6, first 2 shown]
	v_cmp_gt_u32_e64 s0, 22, v58
	v_add_f64_e32 v[16:17], v[16:17], v[44:45]
	v_add_f64_e32 v[18:19], v[18:19], v[46:47]
	;; [unrolled: 1-line block ×7, first 2 shown]
	v_add_f64_e64 v[26:27], v[18:19], -v[42:43]
	v_add_f64_e32 v[28:29], v[12:13], v[14:15]
	v_add_f64_e64 v[30:31], v[50:51], -v[48:49]
	v_add_f64_e64 v[32:33], v[44:45], -v[36:37]
	v_add_f64_e32 v[34:35], v[38:39], v[46:47]
	v_add_f64_e32 v[36:37], v[36:37], v[44:45]
	v_add_f64_e64 v[38:39], v[46:47], -v[38:39]
	v_add_f64_e64 v[12:13], v[14:15], -v[12:13]
	v_add_f64_e32 v[14:15], v[48:49], v[50:51]
	v_add_f64_e64 v[16:17], v[16:17], -v[40:41]
	v_add_f64_e32 v[18:19], v[42:43], v[18:19]
	v_and_b32_e32 v40, 0xffff, v75
	v_lshlrev_b32_e32 v41, 4, v76
	s_delay_alu instid0(VALU_DEP_2) | instskip(NEXT) | instid1(VALU_DEP_1)
	v_mul_u32_u24_e32 v40, 0x4d0, v40
	v_add3_u32 v40, 0, v40, v41
	ds_store_b128 v40, v[20:23]
	ds_store_b128 v40, v[24:27] offset:176
	ds_store_b128 v40, v[28:31] offset:352
	;; [unrolled: 1-line block ×6, first 2 shown]
	global_wb scope:SCOPE_SE
	s_wait_dscnt 0x0
	s_barrier_signal -1
	s_barrier_wait -1
	global_inv scope:SCOPE_SE
	ds_load_b128 v[20:23], v159
	ds_load_b128 v[36:39], v159 offset:1232
	ds_load_b128 v[24:27], v159 offset:2464
	;; [unrolled: 1-line block ×4, first 2 shown]
	s_and_saveexec_b32 s1, s0
	s_cbranch_execz .LBB0_15
; %bb.14:
	ds_load_b128 v[12:15], v159 offset:880
	ds_load_b128 v[16:19], v159 offset:2112
	;; [unrolled: 1-line block ×5, first 2 shown]
.LBB0_15:
	s_wait_alu 0xfffe
	s_or_b32 exec_lo, exec_lo, s1
	v_dual_mov_b32 v41, 0 :: v_dual_lshlrev_b32 v40, 2, v58
	s_mov_b32 s2, 0x134454ff
	s_mov_b32 s3, 0xbfee6f0e
	s_mov_b32 s7, 0x3fee6f0e
	s_wait_alu 0xfffe
	s_mov_b32 s6, s2
	v_lshlrev_b64_e32 v[42:43], 4, v[40:41]
	s_mov_b32 s12, 0x4755a5e
	s_mov_b32 s13, 0xbfe2cf23
	;; [unrolled: 1-line block ×3, first 2 shown]
	s_wait_alu 0xfffe
	s_mov_b32 s10, s12
	s_mov_b32 s14, 0x372fe950
	v_add_co_u32 v54, s1, s4, v42
	s_wait_alu 0xf1ff
	v_add_co_ci_u32_e64 v55, s1, s5, v43, s1
	s_mov_b32 s15, 0x3fd3c6ef
	s_clause 0x3
	global_load_b128 v[42:45], v[54:55], off offset:1056
	global_load_b128 v[46:49], v[54:55], off offset:1072
	;; [unrolled: 1-line block ×4, first 2 shown]
	global_wb scope:SCOPE_SE
	s_wait_loadcnt_dscnt 0x0
	s_barrier_signal -1
	s_barrier_wait -1
	global_inv scope:SCOPE_SE
	v_mul_f64_e32 v[54:55], v[38:39], v[44:45]
	v_mul_f64_e32 v[63:64], v[26:27], v[48:49]
	;; [unrolled: 1-line block ×8, first 2 shown]
	v_fma_f64 v[36:37], v[36:37], v[42:43], v[54:55]
	v_fma_f64 v[24:25], v[24:25], v[46:47], v[63:64]
	;; [unrolled: 1-line block ×4, first 2 shown]
	v_fma_f64 v[26:27], v[26:27], v[46:47], -v[48:49]
	v_fma_f64 v[30:31], v[30:31], v[50:51], -v[52:53]
	;; [unrolled: 1-line block ×4, first 2 shown]
	v_add_f64_e32 v[50:51], v[20:21], v[36:37]
	v_add_f64_e32 v[42:43], v[24:25], v[28:29]
	;; [unrolled: 1-line block ×3, first 2 shown]
	v_add_f64_e64 v[61:62], v[36:37], -v[32:33]
	v_add_f64_e32 v[46:47], v[26:27], v[30:31]
	v_add_f64_e32 v[59:60], v[22:23], v[38:39]
	;; [unrolled: 1-line block ×3, first 2 shown]
	v_add_f64_e64 v[52:53], v[38:39], -v[34:35]
	v_add_f64_e64 v[54:55], v[26:27], -v[30:31]
	;; [unrolled: 1-line block ×8, first 2 shown]
	v_fma_f64 v[42:43], v[42:43], -0.5, v[20:21]
	v_fma_f64 v[20:21], v[44:45], -0.5, v[20:21]
	v_add_f64_e64 v[44:45], v[24:25], -v[28:29]
	v_fma_f64 v[46:47], v[46:47], -0.5, v[22:23]
	v_add_f64_e32 v[26:27], v[59:60], v[26:27]
	v_fma_f64 v[22:23], v[48:49], -0.5, v[22:23]
	v_add_f64_e64 v[48:49], v[36:37], -v[24:25]
	v_add_f64_e64 v[36:37], v[24:25], -v[36:37]
	v_add_f64_e32 v[24:25], v[50:51], v[24:25]
	v_add_f64_e32 v[38:39], v[38:39], v[71:72]
	v_fma_f64 v[50:51], v[52:53], s[2:3], v[42:43]
	v_fma_f64 v[42:43], v[52:53], s[6:7], v[42:43]
	;; [unrolled: 1-line block ×8, first 2 shown]
	v_add_f64_e32 v[24:25], v[24:25], v[28:29]
	v_add_f64_e32 v[26:27], v[26:27], v[30:31]
	;; [unrolled: 1-line block ×5, first 2 shown]
	v_fma_f64 v[28:29], v[54:55], s[12:13], v[50:51]
	s_wait_alu 0xfffe
	v_fma_f64 v[30:31], v[54:55], s[10:11], v[42:43]
	v_fma_f64 v[42:43], v[52:53], s[12:13], v[59:60]
	;; [unrolled: 1-line block ×7, first 2 shown]
	v_add_f64_e32 v[20:21], v[24:25], v[32:33]
	v_add_f64_e32 v[22:23], v[26:27], v[34:35]
	v_fma_f64 v[24:25], v[48:49], s[14:15], v[28:29]
	v_fma_f64 v[28:29], v[48:49], s[14:15], v[30:31]
	;; [unrolled: 1-line block ×8, first 2 shown]
	ds_store_b128 v159, v[20:23]
	ds_store_b128 v159, v[24:27] offset:1232
	ds_store_b128 v159, v[32:35] offset:2464
	;; [unrolled: 1-line block ×4, first 2 shown]
	s_and_saveexec_b32 s1, s0
	s_cbranch_execz .LBB0_17
; %bb.16:
	v_cndmask_b32_e64 v20, 0xffffffea, 55, s0
	s_delay_alu instid0(VALU_DEP_1) | instskip(NEXT) | instid1(VALU_DEP_1)
	v_add_lshl_u32 v40, v58, v20, 2
	v_lshlrev_b64_e32 v[20:21], 4, v[40:41]
	s_delay_alu instid0(VALU_DEP_1) | instskip(SKIP_1) | instid1(VALU_DEP_2)
	v_add_co_u32 v32, s0, s4, v20
	s_wait_alu 0xf1ff
	v_add_co_ci_u32_e64 v33, s0, s5, v21, s0
	s_clause 0x3
	global_load_b128 v[20:23], v[32:33], off offset:1072
	global_load_b128 v[24:27], v[32:33], off offset:1056
	;; [unrolled: 1-line block ×4, first 2 shown]
	s_wait_loadcnt 0x3
	v_mul_f64_e32 v[36:37], v[8:9], v[22:23]
	s_wait_loadcnt 0x2
	v_mul_f64_e32 v[38:39], v[16:17], v[26:27]
	;; [unrolled: 2-line block ×4, first 2 shown]
	v_mul_f64_e32 v[22:23], v[10:11], v[22:23]
	v_mul_f64_e32 v[34:35], v[6:7], v[34:35]
	;; [unrolled: 1-line block ×4, first 2 shown]
	v_fma_f64 v[10:11], v[10:11], v[20:21], -v[36:37]
	v_fma_f64 v[18:19], v[18:19], v[24:25], -v[38:39]
	;; [unrolled: 1-line block ×4, first 2 shown]
	v_fma_f64 v[8:9], v[8:9], v[20:21], v[22:23]
	v_fma_f64 v[4:5], v[4:5], v[32:33], v[34:35]
	;; [unrolled: 1-line block ×4, first 2 shown]
	v_add_f64_e32 v[32:33], v[14:15], v[18:19]
	v_add_f64_e32 v[20:21], v[18:19], v[2:3]
	;; [unrolled: 1-line block ×3, first 2 shown]
	v_add_f64_e64 v[36:37], v[18:19], -v[2:3]
	v_add_f64_e32 v[24:25], v[8:9], v[4:5]
	v_add_f64_e32 v[34:35], v[12:13], v[16:17]
	;; [unrolled: 1-line block ×3, first 2 shown]
	v_add_f64_e64 v[28:29], v[8:9], -v[4:5]
	v_add_f64_e64 v[30:31], v[16:17], -v[0:1]
	;; [unrolled: 1-line block ×8, first 2 shown]
	v_fma_f64 v[20:21], v[20:21], -0.5, v[14:15]
	v_fma_f64 v[14:15], v[22:23], -0.5, v[14:15]
	v_add_f64_e64 v[22:23], v[10:11], -v[6:7]
	v_fma_f64 v[24:25], v[24:25], -0.5, v[12:13]
	v_add_f64_e32 v[8:9], v[34:35], v[8:9]
	v_fma_f64 v[12:13], v[26:27], -0.5, v[12:13]
	v_add_f64_e64 v[26:27], v[10:11], -v[18:19]
	v_add_f64_e64 v[18:19], v[18:19], -v[10:11]
	v_add_f64_e32 v[10:11], v[32:33], v[10:11]
	v_fma_f64 v[32:33], v[28:29], s[6:7], v[20:21]
	v_fma_f64 v[20:21], v[28:29], s[2:3], v[20:21]
	;; [unrolled: 1-line block ×8, first 2 shown]
	v_add_f64_e32 v[6:7], v[10:11], v[6:7]
	v_add_f64_e32 v[4:5], v[8:9], v[4:5]
	;; [unrolled: 1-line block ×6, first 2 shown]
	v_fma_f64 v[8:9], v[30:31], s[12:13], v[32:33]
	v_fma_f64 v[10:11], v[30:31], s[10:11], v[20:21]
	;; [unrolled: 1-line block ×8, first 2 shown]
	v_add_f64_e32 v[2:3], v[6:7], v[2:3]
	v_add_f64_e32 v[0:1], v[4:5], v[0:1]
	v_fma_f64 v[6:7], v[26:27], s[14:15], v[8:9]
	v_fma_f64 v[10:11], v[26:27], s[14:15], v[10:11]
	;; [unrolled: 1-line block ×8, first 2 shown]
	ds_store_b128 v159, v[0:3] offset:880
	ds_store_b128 v159, v[16:19] offset:2112
	;; [unrolled: 1-line block ×5, first 2 shown]
.LBB0_17:
	s_wait_alu 0xfffe
	s_or_b32 exec_lo, exec_lo, s1
	global_wb scope:SCOPE_SE
	s_wait_dscnt 0x0
	s_barrier_signal -1
	s_barrier_wait -1
	global_inv scope:SCOPE_SE
	s_and_saveexec_b32 s0, vcc_lo
	s_cbranch_execz .LBB0_19
; %bb.18:
	ds_load_b128 v[0:3], v159
	ds_load_b128 v[4:7], v159 offset:880
	ds_load_b128 v[8:11], v159 offset:1760
	;; [unrolled: 1-line block ×6, first 2 shown]
	v_mov_b32_e32 v59, 0
	v_add_co_u32 v30, vcc_lo, s8, v56
	s_wait_alu 0xfffd
	v_add_co_ci_u32_e32 v31, vcc_lo, s9, v57, vcc_lo
	s_delay_alu instid0(VALU_DEP_3) | instskip(NEXT) | instid1(VALU_DEP_1)
	v_lshlrev_b64_e32 v[28:29], 4, v[58:59]
	v_add_co_u32 v28, vcc_lo, v30, v28
	s_wait_alu 0xfffd
	s_delay_alu instid0(VALU_DEP_2)
	v_add_co_ci_u32_e32 v29, vcc_lo, v31, v29, vcc_lo
	s_wait_dscnt 0x6
	global_store_b128 v[28:29], v[0:3], off
	s_wait_dscnt 0x5
	global_store_b128 v[28:29], v[4:7], off offset:880
	s_wait_dscnt 0x4
	global_store_b128 v[28:29], v[8:11], off offset:1760
	;; [unrolled: 2-line block ×6, first 2 shown]
.LBB0_19:
	s_nop 0
	s_sendmsg sendmsg(MSG_DEALLOC_VGPRS)
	s_endpgm
	.section	.rodata,"a",@progbits
	.p2align	6, 0x0
	.amdhsa_kernel fft_rtc_back_len385_factors_11_7_5_wgs_55_tpt_55_dp_ip_CI_unitstride_sbrr_dirReg
		.amdhsa_group_segment_fixed_size 0
		.amdhsa_private_segment_fixed_size 0
		.amdhsa_kernarg_size 88
		.amdhsa_user_sgpr_count 2
		.amdhsa_user_sgpr_dispatch_ptr 0
		.amdhsa_user_sgpr_queue_ptr 0
		.amdhsa_user_sgpr_kernarg_segment_ptr 1
		.amdhsa_user_sgpr_dispatch_id 0
		.amdhsa_user_sgpr_private_segment_size 0
		.amdhsa_wavefront_size32 1
		.amdhsa_uses_dynamic_stack 0
		.amdhsa_enable_private_segment 0
		.amdhsa_system_sgpr_workgroup_id_x 1
		.amdhsa_system_sgpr_workgroup_id_y 0
		.amdhsa_system_sgpr_workgroup_id_z 0
		.amdhsa_system_sgpr_workgroup_info 0
		.amdhsa_system_vgpr_workitem_id 0
		.amdhsa_next_free_vgpr 168
		.amdhsa_next_free_sgpr 36
		.amdhsa_reserve_vcc 1
		.amdhsa_float_round_mode_32 0
		.amdhsa_float_round_mode_16_64 0
		.amdhsa_float_denorm_mode_32 3
		.amdhsa_float_denorm_mode_16_64 3
		.amdhsa_fp16_overflow 0
		.amdhsa_workgroup_processor_mode 1
		.amdhsa_memory_ordered 1
		.amdhsa_forward_progress 0
		.amdhsa_round_robin_scheduling 0
		.amdhsa_exception_fp_ieee_invalid_op 0
		.amdhsa_exception_fp_denorm_src 0
		.amdhsa_exception_fp_ieee_div_zero 0
		.amdhsa_exception_fp_ieee_overflow 0
		.amdhsa_exception_fp_ieee_underflow 0
		.amdhsa_exception_fp_ieee_inexact 0
		.amdhsa_exception_int_div_zero 0
	.end_amdhsa_kernel
	.text
.Lfunc_end0:
	.size	fft_rtc_back_len385_factors_11_7_5_wgs_55_tpt_55_dp_ip_CI_unitstride_sbrr_dirReg, .Lfunc_end0-fft_rtc_back_len385_factors_11_7_5_wgs_55_tpt_55_dp_ip_CI_unitstride_sbrr_dirReg
                                        ; -- End function
	.section	.AMDGPU.csdata,"",@progbits
; Kernel info:
; codeLenInByte = 6736
; NumSgprs: 38
; NumVgprs: 168
; ScratchSize: 0
; MemoryBound: 0
; FloatMode: 240
; IeeeMode: 1
; LDSByteSize: 0 bytes/workgroup (compile time only)
; SGPRBlocks: 4
; VGPRBlocks: 20
; NumSGPRsForWavesPerEU: 38
; NumVGPRsForWavesPerEU: 168
; Occupancy: 9
; WaveLimiterHint : 1
; COMPUTE_PGM_RSRC2:SCRATCH_EN: 0
; COMPUTE_PGM_RSRC2:USER_SGPR: 2
; COMPUTE_PGM_RSRC2:TRAP_HANDLER: 0
; COMPUTE_PGM_RSRC2:TGID_X_EN: 1
; COMPUTE_PGM_RSRC2:TGID_Y_EN: 0
; COMPUTE_PGM_RSRC2:TGID_Z_EN: 0
; COMPUTE_PGM_RSRC2:TIDIG_COMP_CNT: 0
	.text
	.p2alignl 7, 3214868480
	.fill 96, 4, 3214868480
	.type	__hip_cuid_b55179f01d742110,@object ; @__hip_cuid_b55179f01d742110
	.section	.bss,"aw",@nobits
	.globl	__hip_cuid_b55179f01d742110
__hip_cuid_b55179f01d742110:
	.byte	0                               ; 0x0
	.size	__hip_cuid_b55179f01d742110, 1

	.ident	"AMD clang version 19.0.0git (https://github.com/RadeonOpenCompute/llvm-project roc-6.4.0 25133 c7fe45cf4b819c5991fe208aaa96edf142730f1d)"
	.section	".note.GNU-stack","",@progbits
	.addrsig
	.addrsig_sym __hip_cuid_b55179f01d742110
	.amdgpu_metadata
---
amdhsa.kernels:
  - .args:
      - .actual_access:  read_only
        .address_space:  global
        .offset:         0
        .size:           8
        .value_kind:     global_buffer
      - .offset:         8
        .size:           8
        .value_kind:     by_value
      - .actual_access:  read_only
        .address_space:  global
        .offset:         16
        .size:           8
        .value_kind:     global_buffer
      - .actual_access:  read_only
        .address_space:  global
        .offset:         24
        .size:           8
        .value_kind:     global_buffer
      - .offset:         32
        .size:           8
        .value_kind:     by_value
      - .actual_access:  read_only
        .address_space:  global
        .offset:         40
        .size:           8
        .value_kind:     global_buffer
      - .actual_access:  read_only
        .address_space:  global
        .offset:         48
        .size:           8
        .value_kind:     global_buffer
      - .offset:         56
        .size:           4
        .value_kind:     by_value
      - .actual_access:  read_only
        .address_space:  global
        .offset:         64
        .size:           8
        .value_kind:     global_buffer
      - .actual_access:  read_only
        .address_space:  global
        .offset:         72
        .size:           8
        .value_kind:     global_buffer
      - .address_space:  global
        .offset:         80
        .size:           8
        .value_kind:     global_buffer
    .group_segment_fixed_size: 0
    .kernarg_segment_align: 8
    .kernarg_segment_size: 88
    .language:       OpenCL C
    .language_version:
      - 2
      - 0
    .max_flat_workgroup_size: 55
    .name:           fft_rtc_back_len385_factors_11_7_5_wgs_55_tpt_55_dp_ip_CI_unitstride_sbrr_dirReg
    .private_segment_fixed_size: 0
    .sgpr_count:     38
    .sgpr_spill_count: 0
    .symbol:         fft_rtc_back_len385_factors_11_7_5_wgs_55_tpt_55_dp_ip_CI_unitstride_sbrr_dirReg.kd
    .uniform_work_group_size: 1
    .uses_dynamic_stack: false
    .vgpr_count:     168
    .vgpr_spill_count: 0
    .wavefront_size: 32
    .workgroup_processor_mode: 1
amdhsa.target:   amdgcn-amd-amdhsa--gfx1201
amdhsa.version:
  - 1
  - 2
...

	.end_amdgpu_metadata
